;; amdgpu-corpus repo=ROCm/rocFFT kind=compiled arch=gfx950 opt=O3
	.text
	.amdgcn_target "amdgcn-amd-amdhsa--gfx950"
	.amdhsa_code_object_version 6
	.protected	fft_rtc_back_len120_factors_6_10_2_wgs_60_tpt_12_halfLds_half_ip_CI_unitstride_sbrr_dirReg ; -- Begin function fft_rtc_back_len120_factors_6_10_2_wgs_60_tpt_12_halfLds_half_ip_CI_unitstride_sbrr_dirReg
	.globl	fft_rtc_back_len120_factors_6_10_2_wgs_60_tpt_12_halfLds_half_ip_CI_unitstride_sbrr_dirReg
	.p2align	8
	.type	fft_rtc_back_len120_factors_6_10_2_wgs_60_tpt_12_halfLds_half_ip_CI_unitstride_sbrr_dirReg,@function
fft_rtc_back_len120_factors_6_10_2_wgs_60_tpt_12_halfLds_half_ip_CI_unitstride_sbrr_dirReg: ; @fft_rtc_back_len120_factors_6_10_2_wgs_60_tpt_12_halfLds_half_ip_CI_unitstride_sbrr_dirReg
; %bb.0:
	s_load_dwordx2 s[8:9], s[0:1], 0x50
	s_load_dwordx4 s[4:7], s[0:1], 0x0
	s_load_dwordx2 s[10:11], s[0:1], 0x18
	v_mul_u32_u24_e32 v1, 0x1556, v0
	v_lshrrev_b32_e32 v2, 16, v1
	v_mad_u64_u32 v[4:5], s[2:3], s2, 5, v[2:3]
	v_mov_b32_e32 v6, 0
	v_mov_b32_e32 v5, v6
	s_waitcnt lgkmcnt(0)
	v_cmp_lt_u64_e64 s[2:3], s[6:7], 2
	s_and_b64 vcc, exec, s[2:3]
	v_mov_b64_e32 v[2:3], 0
	v_mov_b64_e32 v[10:11], v[4:5]
	s_cbranch_vccnz .LBB0_8
; %bb.1:
	s_load_dwordx2 s[2:3], s[0:1], 0x10
	s_add_u32 s12, s10, 8
	s_addc_u32 s13, s11, 0
	s_mov_b64 s[14:15], 1
	v_mov_b64_e32 v[2:3], 0
	s_waitcnt lgkmcnt(0)
	s_add_u32 s16, s2, 8
	s_addc_u32 s17, s3, 0
	v_mov_b64_e32 v[8:9], v[4:5]
.LBB0_2:                                ; =>This Inner Loop Header: Depth=1
	s_load_dwordx2 s[18:19], s[16:17], 0x0
                                        ; implicit-def: $vgpr10_vgpr11
	s_waitcnt lgkmcnt(0)
	v_or_b32_e32 v7, s19, v9
	v_cmp_ne_u64_e32 vcc, 0, v[6:7]
	s_and_saveexec_b64 s[2:3], vcc
	s_xor_b64 s[20:21], exec, s[2:3]
	s_cbranch_execz .LBB0_4
; %bb.3:                                ;   in Loop: Header=BB0_2 Depth=1
	v_cvt_f32_u32_e32 v1, s18
	v_cvt_f32_u32_e32 v5, s19
	s_sub_u32 s2, 0, s18
	s_subb_u32 s3, 0, s19
	v_fmac_f32_e32 v1, 0x4f800000, v5
	v_rcp_f32_e32 v1, v1
	s_nop 0
	v_mul_f32_e32 v1, 0x5f7ffffc, v1
	v_mul_f32_e32 v5, 0x2f800000, v1
	v_trunc_f32_e32 v5, v5
	v_fmac_f32_e32 v1, 0xcf800000, v5
	v_cvt_u32_f32_e32 v5, v5
	v_cvt_u32_f32_e32 v1, v1
	v_mul_lo_u32 v7, s2, v5
	v_mul_hi_u32 v10, s2, v1
	v_mul_lo_u32 v11, s3, v1
	v_add_u32_e32 v7, v10, v7
	v_mul_lo_u32 v14, s2, v1
	v_add_u32_e32 v7, v7, v11
	v_mul_hi_u32 v10, v1, v14
	v_mul_hi_u32 v13, v1, v7
	v_mul_lo_u32 v12, v1, v7
	v_mov_b32_e32 v11, v6
	v_lshl_add_u64 v[10:11], v[10:11], 0, v[12:13]
	v_mul_hi_u32 v13, v5, v14
	v_mul_lo_u32 v14, v5, v14
	v_add_co_u32_e32 v10, vcc, v10, v14
	v_mul_hi_u32 v12, v5, v7
	s_nop 0
	v_addc_co_u32_e32 v10, vcc, v11, v13, vcc
	v_mov_b32_e32 v11, v6
	s_nop 0
	v_addc_co_u32_e32 v13, vcc, 0, v12, vcc
	v_mul_lo_u32 v12, v5, v7
	v_lshl_add_u64 v[10:11], v[10:11], 0, v[12:13]
	v_add_co_u32_e32 v1, vcc, v1, v10
	v_mul_hi_u32 v10, s2, v1
	s_nop 0
	v_addc_co_u32_e32 v5, vcc, v5, v11, vcc
	v_mul_lo_u32 v7, s2, v5
	v_add_u32_e32 v7, v10, v7
	v_mul_lo_u32 v10, s3, v1
	v_add_u32_e32 v7, v7, v10
	v_mul_lo_u32 v12, s2, v1
	v_mul_hi_u32 v15, v5, v12
	v_mul_lo_u32 v16, v5, v12
	v_mul_hi_u32 v11, v1, v7
	;; [unrolled: 2-line block ×3, first 2 shown]
	v_mov_b32_e32 v13, v6
	v_lshl_add_u64 v[10:11], v[12:13], 0, v[10:11]
	v_add_co_u32_e32 v10, vcc, v10, v16
	v_mul_hi_u32 v14, v5, v7
	s_nop 0
	v_addc_co_u32_e32 v10, vcc, v11, v15, vcc
	v_mul_lo_u32 v12, v5, v7
	s_nop 0
	v_addc_co_u32_e32 v13, vcc, 0, v14, vcc
	v_mov_b32_e32 v11, v6
	v_lshl_add_u64 v[10:11], v[10:11], 0, v[12:13]
	v_add_co_u32_e32 v1, vcc, v1, v10
	v_mul_hi_u32 v12, v8, v1
	s_nop 0
	v_addc_co_u32_e32 v5, vcc, v5, v11, vcc
	v_mad_u64_u32 v[10:11], s[2:3], v8, v5, 0
	v_mov_b32_e32 v13, v6
	v_lshl_add_u64 v[10:11], v[12:13], 0, v[10:11]
	v_mad_u64_u32 v[14:15], s[2:3], v9, v1, 0
	v_add_co_u32_e32 v1, vcc, v10, v14
	v_mad_u64_u32 v[12:13], s[2:3], v9, v5, 0
	s_nop 0
	v_addc_co_u32_e32 v10, vcc, v11, v15, vcc
	v_mov_b32_e32 v11, v6
	s_nop 0
	v_addc_co_u32_e32 v13, vcc, 0, v13, vcc
	v_lshl_add_u64 v[10:11], v[10:11], 0, v[12:13]
	v_mul_lo_u32 v1, s19, v10
	v_mul_lo_u32 v5, s18, v11
	v_mad_u64_u32 v[12:13], s[2:3], s18, v10, 0
	v_add3_u32 v1, v13, v5, v1
	v_sub_u32_e32 v5, v9, v1
	v_mov_b32_e32 v7, s19
	v_sub_co_u32_e32 v16, vcc, v8, v12
	v_lshl_add_u64 v[14:15], v[10:11], 0, 1
	s_nop 0
	v_subb_co_u32_e64 v5, s[2:3], v5, v7, vcc
	v_subrev_co_u32_e64 v7, s[2:3], s18, v16
	v_subb_co_u32_e32 v1, vcc, v9, v1, vcc
	s_nop 0
	v_subbrev_co_u32_e64 v5, s[2:3], 0, v5, s[2:3]
	v_cmp_le_u32_e64 s[2:3], s19, v5
	v_cmp_le_u32_e32 vcc, s19, v1
	s_nop 0
	v_cndmask_b32_e64 v12, 0, -1, s[2:3]
	v_cmp_le_u32_e64 s[2:3], s18, v7
	s_nop 1
	v_cndmask_b32_e64 v7, 0, -1, s[2:3]
	v_cmp_eq_u32_e64 s[2:3], s19, v5
	s_nop 1
	v_cndmask_b32_e64 v5, v12, v7, s[2:3]
	v_lshl_add_u64 v[12:13], v[10:11], 0, 2
	v_cmp_ne_u32_e64 s[2:3], 0, v5
	v_cndmask_b32_e64 v7, 0, -1, vcc
	v_cmp_le_u32_e32 vcc, s18, v16
	v_cndmask_b32_e64 v5, v15, v13, s[2:3]
	s_nop 0
	v_cndmask_b32_e64 v13, 0, -1, vcc
	v_cmp_eq_u32_e32 vcc, s19, v1
	s_nop 1
	v_cndmask_b32_e32 v1, v7, v13, vcc
	v_cmp_ne_u32_e32 vcc, 0, v1
	v_cndmask_b32_e64 v1, v14, v12, s[2:3]
	s_nop 0
	v_cndmask_b32_e32 v11, v11, v5, vcc
	v_cndmask_b32_e32 v10, v10, v1, vcc
.LBB0_4:                                ;   in Loop: Header=BB0_2 Depth=1
	s_andn2_saveexec_b64 s[2:3], s[20:21]
	s_cbranch_execz .LBB0_6
; %bb.5:                                ;   in Loop: Header=BB0_2 Depth=1
	v_cvt_f32_u32_e32 v1, s18
	s_sub_i32 s20, 0, s18
	v_mov_b32_e32 v11, v6
	v_rcp_iflag_f32_e32 v1, v1
	s_nop 0
	v_mul_f32_e32 v1, 0x4f7ffffe, v1
	v_cvt_u32_f32_e32 v1, v1
	v_mul_lo_u32 v5, s20, v1
	v_mul_hi_u32 v5, v1, v5
	v_add_u32_e32 v1, v1, v5
	v_mul_hi_u32 v1, v8, v1
	v_mul_lo_u32 v5, v1, s18
	v_sub_u32_e32 v5, v8, v5
	v_add_u32_e32 v7, 1, v1
	v_subrev_u32_e32 v10, s18, v5
	v_cmp_le_u32_e32 vcc, s18, v5
	s_nop 1
	v_cndmask_b32_e32 v5, v5, v10, vcc
	v_cndmask_b32_e32 v1, v1, v7, vcc
	v_add_u32_e32 v7, 1, v1
	v_cmp_le_u32_e32 vcc, s18, v5
	s_nop 1
	v_cndmask_b32_e32 v10, v1, v7, vcc
.LBB0_6:                                ;   in Loop: Header=BB0_2 Depth=1
	s_or_b64 exec, exec, s[2:3]
	v_mad_u64_u32 v[12:13], s[2:3], v10, s18, 0
	s_load_dwordx2 s[2:3], s[12:13], 0x0
	s_add_u32 s14, s14, 1
	v_mul_lo_u32 v1, v11, s18
	v_mul_lo_u32 v5, v10, s19
	s_addc_u32 s15, s15, 0
	v_add3_u32 v1, v13, v5, v1
	v_sub_co_u32_e32 v5, vcc, v8, v12
	s_add_u32 s12, s12, 8
	s_nop 0
	v_subb_co_u32_e32 v1, vcc, v9, v1, vcc
	s_addc_u32 s13, s13, 0
	v_mov_b64_e32 v[8:9], s[6:7]
	s_waitcnt lgkmcnt(0)
	v_mul_lo_u32 v1, s2, v1
	v_mul_lo_u32 v7, s3, v5
	v_mad_u64_u32 v[2:3], s[2:3], s2, v5, v[2:3]
	s_add_u32 s16, s16, 8
	v_cmp_ge_u64_e32 vcc, s[14:15], v[8:9]
	v_add3_u32 v3, v7, v3, v1
	s_addc_u32 s17, s17, 0
	s_cbranch_vccnz .LBB0_8
; %bb.7:                                ;   in Loop: Header=BB0_2 Depth=1
	v_mov_b64_e32 v[8:9], v[10:11]
	s_branch .LBB0_2
.LBB0_8:
	s_lshl_b64 s[2:3], s[6:7], 3
	s_add_u32 s2, s10, s2
	s_addc_u32 s3, s11, s3
	s_load_dwordx2 s[6:7], s[2:3], 0x0
	s_load_dwordx2 s[10:11], s[0:1], 0x20
                                        ; implicit-def: $vgpr6
                                        ; implicit-def: $vgpr20
                                        ; implicit-def: $vgpr7
                                        ; implicit-def: $vgpr23
                                        ; implicit-def: $vgpr15
                                        ; implicit-def: $vgpr12
                                        ; implicit-def: $vgpr16
                                        ; implicit-def: $vgpr9
                                        ; implicit-def: $vgpr17
                                        ; implicit-def: $vgpr13
                                        ; implicit-def: $vgpr18
                                        ; implicit-def: $vgpr19
                                        ; implicit-def: $vgpr14
                                        ; implicit-def: $vgpr8
                                        ; implicit-def: $vgpr22
                                        ; implicit-def: $vgpr21
                                        ; implicit-def: $vgpr24
	s_waitcnt lgkmcnt(0)
	v_mad_u64_u32 v[2:3], s[0:1], s6, v10, v[2:3]
	v_mul_lo_u32 v1, s6, v11
	v_mul_lo_u32 v5, s7, v10
	s_mov_b32 s0, 0x15555556
	v_add3_u32 v3, v5, v3, v1
	v_mul_hi_u32 v1, v0, s0
	v_mul_u32_u24_e32 v1, 12, v1
	v_cmp_gt_u64_e32 vcc, s[10:11], v[10:11]
	v_sub_u32_e32 v0, v0, v1
	v_lshl_add_u64 v[2:3], v[2:3], 2, s[8:9]
                                        ; implicit-def: $vgpr1
                                        ; implicit-def: $vgpr5
                                        ; implicit-def: $vgpr10
                                        ; implicit-def: $vgpr11
	s_and_saveexec_b64 s[2:3], vcc
	s_cbranch_execz .LBB0_12
; %bb.9:
	v_mov_b32_e32 v1, 0
	v_lshl_add_u64 v[6:7], v[0:1], 2, v[2:3]
	global_load_dword v20, v[6:7], off
	global_load_dword v21, v[6:7], off offset:400
	global_load_dword v15, v[6:7], off offset:320
	global_load_dword v22, v[6:7], off offset:240
	global_load_dword v1, v[6:7], off offset:160
	global_load_dword v24, v[6:7], off offset:80
	v_cmp_gt_u32_e64 s[0:1], 8, v0
                                        ; implicit-def: $vgpr8
                                        ; implicit-def: $vgpr14
                                        ; implicit-def: $vgpr19
                                        ; implicit-def: $vgpr11
                                        ; implicit-def: $vgpr18
                                        ; implicit-def: $vgpr10
                                        ; implicit-def: $vgpr5
                                        ; implicit-def: $vgpr13
                                        ; implicit-def: $vgpr17
                                        ; implicit-def: $vgpr9
                                        ; implicit-def: $vgpr16
                                        ; implicit-def: $vgpr12
	s_and_saveexec_b64 s[6:7], s[0:1]
	s_cbranch_execz .LBB0_11
; %bb.10:
	global_load_dword v16, v[6:7], off offset:48
	global_load_dword v17, v[6:7], off offset:128
	global_load_dword v5, v[6:7], off offset:208
	global_load_dword v18, v[6:7], off offset:288
	global_load_dword v8, v[6:7], off offset:368
	global_load_dword v19, v[6:7], off offset:448
	s_waitcnt vmcnt(5)
	v_lshrrev_b32_e32 v12, 16, v16
	s_waitcnt vmcnt(4)
	v_lshrrev_b32_e32 v9, 16, v17
	;; [unrolled: 2-line block ×6, first 2 shown]
.LBB0_11:
	s_or_b64 exec, exec, s[6:7]
	s_waitcnt vmcnt(5)
	v_lshrrev_b32_e32 v6, 16, v20
	s_waitcnt vmcnt(1)
	v_lshrrev_b32_e32 v7, 16, v1
	v_lshrrev_b32_e32 v23, 16, v15
.LBB0_12:
	s_or_b64 exec, exec, s[2:3]
	s_mov_b32 s0, 0xcccccccd
	v_mul_hi_u32 v25, v4, s0
	v_lshrrev_b32_e32 v25, 2, v25
	v_lshl_add_u32 v25, v25, 2, v25
	v_sub_u32_e32 v4, v4, v25
	v_add_f16_e32 v25, v1, v15
	v_mul_u32_u24_e32 v28, 0x78, v4
	v_add_f16_e32 v4, v20, v1
	v_fma_f16 v20, v25, -0.5, v20
	v_sub_f16_e32 v25, v7, v23
	s_mov_b32 s6, 0xbaee
	s_movk_i32 s7, 0x3aee
	v_pk_add_f16 v27, v22, v21
	v_fma_f16 v26, v25, s6, v20
	v_fma_f16 v25, v25, s7, v20
	s_waitcnt vmcnt(0)
	v_pk_add_f16 v20, v24, v22
	v_pk_fma_f16 v24, v27, -0.5, v24 op_sel_hi:[1,0,1]
	v_pk_add_f16 v22, v22, v21 neg_lo:[0,1] neg_hi:[0,1]
	v_pk_add_f16 v20, v20, v21
	v_pk_fma_f16 v21, v22, s7, v24 op_sel:[0,0,1] op_sel_hi:[1,0,0]
	v_pk_fma_f16 v22, v22, s7, v24 op_sel:[0,0,1] op_sel_hi:[1,0,0] neg_lo:[1,0,0] neg_hi:[1,0,0]
	v_add_f16_e32 v4, v4, v15
	v_lshrrev_b32_e32 v24, 16, v22
	v_mul_f16_e32 v27, 0xbaee, v21
	v_add_f16_e32 v30, v4, v20
	v_fma_f16 v24, v24, 0.5, v27
	v_lshrrev_b32_e32 v27, 16, v21
	v_mul_f16_e32 v29, 0xbaee, v22
	v_sub_f16_e32 v33, v4, v20
	v_add_f16_e32 v4, v18, v19
	v_add_f16_e32 v31, v26, v24
	v_fma_f16 v27, v27, -0.5, v29
	v_sub_f16_e32 v34, v26, v24
	v_fma_f16 v4, v4, -0.5, v17
	v_sub_f16_e32 v24, v10, v11
	v_add_f16_e32 v32, v25, v27
	v_sub_f16_e32 v35, v25, v27
	v_fma_f16 v25, v24, s6, v4
	v_fma_f16 v4, v24, s7, v4
	v_add_f16_e32 v24, v10, v11
	v_fma_f16 v24, v24, -0.5, v9
	v_sub_f16_e32 v26, v18, v19
	v_fma_f16 v27, v26, s7, v24
	v_fma_f16 v26, v26, s6, v24
	v_mul_u32_u24_e32 v24, 6, v0
	v_lshl_add_u32 v24, v24, 1, 0
	v_lshl_add_u32 v29, v28, 1, v24
	v_pack_b32_f16 v32, v32, v33
	v_pack_b32_f16 v30, v30, v31
	ds_write2_b32 v29, v30, v32 offset1:1
	v_pack_b32_f16 v30, v34, v35
	v_cmp_gt_u32_e64 s[0:1], 8, v0
	ds_write_b32 v29, v30 offset:8
	s_and_saveexec_b64 s[2:3], s[0:1]
	s_cbranch_execz .LBB0_14
; %bb.13:
	v_add_f16_e32 v30, v5, v8
	v_fma_f16 v30, v30, -0.5, v16
	v_sub_f16_e32 v31, v13, v14
	v_fma_f16 v32, v31, s7, v30
	v_mul_f16_e32 v33, 0xbaee, v26
	v_fma_f16 v30, v31, s6, v30
	v_mul_f16_e32 v31, 0xbaee, v27
	v_add_f16_e32 v16, v16, v5
	v_add_f16_e32 v17, v17, v18
	v_fma_f16 v33, v4, -0.5, v33
	v_fma_f16 v31, v25, 0.5, v31
	v_add_f16_e32 v16, v16, v8
	v_add_f16_e32 v17, v17, v19
	v_sub_f16_e32 v35, v30, v31
	v_sub_f16_e32 v18, v16, v17
	v_add_f16_e32 v19, v32, v33
	v_add_f16_e32 v30, v30, v31
	;; [unrolled: 1-line block ×3, first 2 shown]
	v_sub_f16_e32 v34, v32, v33
	v_pack_b32_f16 v17, v19, v18
	v_pack_b32_f16 v16, v16, v30
	ds_write2_b32 v29, v16, v17 offset0:36 offset1:37
	v_pack_b32_f16 v16, v35, v34
	ds_write_b32 v29, v16 offset:152
.LBB0_14:
	s_or_b64 exec, exec, s[2:3]
	v_add_f16_e32 v16, v6, v7
	v_add_f16_e32 v7, v7, v23
	v_sub_f16_e32 v1, v1, v15
	v_fma_f16 v6, v7, -0.5, v6
	v_mul_f16_e32 v1, 0x3aee, v1
	s_mov_b32 s2, 0x3aee3800
	v_pk_add_f16 v7, v6, v1
	v_pk_add_f16 v1, v6, v1 neg_lo:[0,1] neg_hi:[0,1]
	v_pk_mul_f16 v6, v22, s2
	v_pack_b32_f16 v1, v7, v1
	v_pk_fma_f16 v7, v21, s2, v6 op_sel:[0,0,1] op_sel_hi:[1,1,0]
	v_pk_fma_f16 v6, v21, s2, v6 op_sel:[0,0,1] op_sel_hi:[1,1,0] neg_lo:[0,0,1] neg_hi:[0,0,1]
	s_mov_b32 s2, 0xffff
	v_bfi_b32 v6, s2, v7, v6
	v_pk_add_f16 v31, v1, v6
	v_pk_add_f16 v33, v1, v6 neg_lo:[0,1] neg_hi:[0,1]
	v_lshlrev_b32_e32 v1, 1, v28
	v_lshlrev_b32_e32 v6, 1, v0
	v_add_f16_e32 v16, v16, v23
	v_add3_u32 v6, 0, v1, v6
	v_mul_i32_i24_e32 v7, -10, v0
	v_add_f16_sdwa v30, v16, v20 dst_sel:DWORD dst_unused:UNUSED_PAD src0_sel:DWORD src1_sel:WORD_1
	v_sub_f16_sdwa v32, v16, v20 dst_sel:DWORD dst_unused:UNUSED_PAD src0_sel:DWORD src1_sel:WORD_1
	s_waitcnt lgkmcnt(0)
	; wave barrier
	s_waitcnt lgkmcnt(0)
	v_add3_u32 v7, v24, v7, v1
	ds_read_u16 v15, v6
	ds_read_u16 v24, v7 offset:24
	ds_read_u16 v23, v7 offset:48
	;; [unrolled: 1-line block ×9, first 2 shown]
	v_alignbit_b32 v28, v32, v31, 16
	v_pack_b32_f16 v30, v30, v31
	s_waitcnt lgkmcnt(0)
	; wave barrier
	s_waitcnt lgkmcnt(0)
	ds_write2_b32 v29, v30, v28 offset1:1
	ds_write_b32 v29, v33 offset:8
	s_and_saveexec_b64 s[2:3], s[0:1]
	s_cbranch_execz .LBB0_16
; %bb.15:
	v_add_f16_e32 v28, v12, v13
	v_add_f16_e32 v13, v13, v14
	v_fma_f16 v12, v13, -0.5, v12
	v_sub_f16_e32 v5, v5, v8
	s_movk_i32 s0, 0x3aee
	s_mov_b32 s1, 0xbaee
	v_mul_f16_e32 v13, -0.5, v26
	v_fma_f16 v8, v5, s0, v12
	v_fma_f16 v5, v5, s1, v12
	v_add_f16_e32 v9, v9, v10
	v_fma_f16 v4, v4, s0, v13
	v_add_f16_e32 v9, v9, v11
	v_mul_f16_e32 v11, 0x3aee, v25
	v_add_f16_e32 v13, v5, v4
	v_sub_f16_e32 v4, v5, v4
	v_add_u32_e32 v5, 12, v0
	v_add_f16_e32 v28, v28, v14
	v_fma_f16 v11, v27, 0.5, v11
	v_mul_u32_u24_e32 v5, 6, v5
	v_add_f16_e32 v10, v9, v28
	v_add_f16_e32 v12, v8, v11
	v_sub_f16_e32 v9, v28, v9
	v_sub_f16_e32 v8, v8, v11
	v_lshlrev_b32_e32 v5, 1, v5
	v_add3_u32 v5, 0, v5, v1
	v_pack_b32_f16 v9, v13, v9
	v_pack_b32_f16 v10, v10, v12
	;; [unrolled: 1-line block ×3, first 2 shown]
	ds_write2_b32 v5, v10, v9 offset1:1
	ds_write_b32 v5, v4 offset:8
.LBB0_16:
	s_or_b64 exec, exec, s[2:3]
	v_add_u32_e32 v4, -6, v0
	v_cmp_gt_u32_e64 s[0:1], 6, v0
	v_mov_b32_e32 v5, 0
	s_waitcnt lgkmcnt(0)
	v_cndmask_b32_e64 v14, v4, v0, s[0:1]
	v_mul_i32_i24_e32 v4, 9, v14
	v_lshl_add_u64 v[12:13], v[4:5], 2, s[4:5]
	; wave barrier
	global_load_dwordx4 v[8:11], v[12:13], off
	global_load_dwordx4 v[26:29], v[12:13], off offset:16
	global_load_dword v4, v[12:13], off offset:32
	ds_read_u16 v12, v6
	ds_read_u16 v13, v7 offset:24
	ds_read_u16 v25, v7 offset:48
	;; [unrolled: 1-line block ×9, first 2 shown]
	s_mov_b32 s0, 0xbb9c
	s_movk_i32 s3, 0x3b9c
	s_mov_b32 s1, 0xb8b4
	s_movk_i32 s6, 0x38b4
	s_movk_i32 s2, 0x34f2
	s_waitcnt lgkmcnt(0)
	; wave barrier
	s_waitcnt vmcnt(2) lgkmcnt(0)
	v_mul_f16_sdwa v37, v13, v8 dst_sel:DWORD dst_unused:UNUSED_PAD src0_sel:DWORD src1_sel:WORD_1
	v_mul_f16_sdwa v38, v24, v8 dst_sel:DWORD dst_unused:UNUSED_PAD src0_sel:DWORD src1_sel:WORD_1
	;; [unrolled: 1-line block ×4, first 2 shown]
	s_waitcnt vmcnt(1)
	v_mul_f16_sdwa v47, v33, v27 dst_sel:DWORD dst_unused:UNUSED_PAD src0_sel:DWORD src1_sel:WORD_1
	v_mul_f16_sdwa v51, v35, v29 dst_sel:DWORD dst_unused:UNUSED_PAD src0_sel:DWORD src1_sel:WORD_1
	;; [unrolled: 1-line block ×9, first 2 shown]
	v_fma_f16 v24, v24, v8, v37
	v_fma_f16 v8, v13, v8, -v38
	v_fma_f16 v13, v23, v9, v39
	v_fma_f16 v21, v21, v11, v43
	;; [unrolled: 1-line block ×4, first 2 shown]
	v_mul_f16_sdwa v41, v30, v10 dst_sel:DWORD dst_unused:UNUSED_PAD src0_sel:DWORD src1_sel:WORD_1
	v_mul_f16_sdwa v42, v22, v10 dst_sel:DWORD dst_unused:UNUSED_PAD src0_sel:DWORD src1_sel:WORD_1
	;; [unrolled: 1-line block ×3, first 2 shown]
	s_waitcnt vmcnt(0)
	v_mul_f16_sdwa v53, v36, v4 dst_sel:DWORD dst_unused:UNUSED_PAD src0_sel:DWORD src1_sel:WORD_1
	v_mul_f16_sdwa v54, v16, v4 dst_sel:DWORD dst_unused:UNUSED_PAD src0_sel:DWORD src1_sel:WORD_1
	v_fma_f16 v9, v25, v9, -v40
	v_fma_f16 v11, v31, v11, -v44
	v_fma_f16 v20, v20, v26, v45
	v_fma_f16 v23, v32, v26, -v46
	v_fma_f16 v25, v33, v27, -v48
	;; [unrolled: 1-line block ×4, first 2 shown]
	v_add_f16_e32 v29, v21, v19
	v_add_f16_e32 v34, v13, v17
	v_fma_f16 v22, v22, v10, v41
	v_fma_f16 v10, v30, v10, -v42
	v_fma_f16 v18, v18, v28, v49
	v_fma_f16 v16, v16, v4, v53
	v_fma_f16 v4, v36, v4, -v54
	v_add_f16_e32 v28, v15, v13
	v_sub_f16_e32 v30, v9, v27
	v_sub_f16_e32 v31, v11, v25
	;; [unrolled: 1-line block ×6, first 2 shown]
	v_fma_f16 v29, v29, -0.5, v15
	v_fma_f16 v15, v34, -0.5, v15
	v_add_f16_e32 v32, v32, v33
	v_add_f16_e32 v33, v35, v36
	v_fma_f16 v34, v30, s0, v29
	v_fma_f16 v29, v30, s3, v29
	;; [unrolled: 1-line block ×8, first 2 shown]
	v_add_f16_e32 v28, v28, v21
	v_fma_f16 v31, v33, s2, v31
	v_fma_f16 v15, v33, s2, v15
	v_add_f16_e32 v33, v11, v25
	v_add_f16_e32 v28, v28, v19
	v_fma_f16 v33, v33, -0.5, v12
	v_sub_f16_e32 v13, v13, v17
	v_add_f16_e32 v28, v28, v17
	v_fma_f16 v30, v32, s2, v34
	v_fma_f16 v17, v13, s3, v33
	v_sub_f16_e32 v19, v21, v19
	v_sub_f16_e32 v21, v9, v11
	;; [unrolled: 1-line block ×3, first 2 shown]
	v_fma_f16 v33, v13, s0, v33
	v_fma_f16 v17, v19, s6, v17
	v_add_f16_e32 v21, v21, v34
	v_fma_f16 v33, v19, s1, v33
	v_fma_f16 v17, v21, s2, v17
	;; [unrolled: 1-line block ×3, first 2 shown]
	v_add_f16_e32 v33, v9, v27
	v_add_f16_e32 v37, v12, v9
	v_fma_f16 v12, v33, -0.5, v12
	v_fma_f16 v33, v19, s0, v12
	v_fma_f16 v12, v19, s3, v12
	;; [unrolled: 1-line block ×3, first 2 shown]
	v_add_f16_e32 v32, v37, v11
	v_fma_f16 v33, v13, s6, v33
	v_sub_f16_e32 v9, v11, v9
	v_sub_f16_e32 v11, v25, v27
	v_fma_f16 v12, v13, s1, v12
	v_add_f16_e32 v13, v20, v18
	v_add_f16_e32 v32, v32, v25
	;; [unrolled: 1-line block ×3, first 2 shown]
	v_fma_f16 v13, v13, -0.5, v24
	v_sub_f16_e32 v19, v10, v4
	v_add_f16_e32 v32, v32, v27
	v_fma_f16 v11, v9, s2, v33
	v_fma_f16 v25, v19, s0, v13
	v_sub_f16_e32 v27, v23, v26
	v_sub_f16_e32 v33, v22, v20
	;; [unrolled: 1-line block ×3, first 2 shown]
	v_fma_f16 v13, v19, s3, v13
	v_fma_f16 v25, v27, s1, v25
	v_add_f16_e32 v33, v33, v34
	v_fma_f16 v13, v27, s6, v13
	v_fma_f16 v9, v9, s2, v12
	v_add_f16_e32 v12, v24, v22
	;; [unrolled: 3-line block ×3, first 2 shown]
	v_add_f16_e32 v12, v12, v20
	v_fma_f16 v24, v33, -0.5, v24
	v_add_f16_e32 v12, v12, v18
	v_fma_f16 v33, v27, s3, v24
	v_fma_f16 v24, v27, s0, v24
	v_add_f16_e32 v27, v23, v26
	v_add_f16_e32 v12, v12, v16
	v_sub_f16_e32 v34, v20, v22
	v_sub_f16_e32 v35, v18, v16
	v_fma_f16 v27, v27, -0.5, v8
	v_sub_f16_e32 v16, v22, v16
	v_fma_f16 v33, v19, s1, v33
	v_add_f16_e32 v34, v34, v35
	v_fma_f16 v19, v19, s6, v24
	v_fma_f16 v22, v16, s3, v27
	v_sub_f16_e32 v18, v20, v18
	v_fma_f16 v33, v34, s2, v33
	v_fma_f16 v19, v34, s2, v19
	;; [unrolled: 1-line block ×3, first 2 shown]
	v_sub_f16_e32 v22, v10, v23
	v_sub_f16_e32 v34, v4, v26
	v_fma_f16 v27, v16, s0, v27
	v_add_f16_e32 v24, v8, v10
	v_add_f16_e32 v22, v22, v34
	v_fma_f16 v27, v18, s1, v27
	v_add_f16_e32 v24, v24, v23
	v_fma_f16 v20, v22, s2, v20
	v_fma_f16 v22, v22, s2, v27
	v_add_f16_e32 v27, v10, v4
	v_add_f16_e32 v24, v24, v26
	v_fma_f16 v8, v27, -0.5, v8
	v_add_f16_e32 v24, v24, v4
	v_fma_f16 v27, v18, s0, v8
	v_sub_f16_e32 v10, v23, v10
	v_sub_f16_e32 v4, v26, v4
	v_fma_f16 v8, v18, s3, v8
	v_fma_f16 v27, v16, s6, v27
	v_add_f16_e32 v4, v10, v4
	v_fma_f16 v8, v16, s1, v8
	v_fma_f16 v10, v4, s2, v27
	;; [unrolled: 1-line block ×3, first 2 shown]
	v_mul_f16_e32 v16, 0xb8b4, v20
	s_movk_i32 s0, 0x3a79
	v_fma_f16 v16, v25, s0, v16
	v_mul_f16_e32 v27, 0xbb9c, v4
	s_mov_b32 s0, 0xb4f2
	v_mul_f16_e32 v4, 0xb4f2, v4
	v_fma_f16 v27, v19, s0, v27
	v_mul_f16_e32 v35, 0xb8b4, v22
	s_mov_b32 s0, 0xba79
	v_fma_f16 v4, v19, s3, v4
	v_mul_f16_e32 v23, 0xbb9c, v10
	v_fma_f16 v35, v13, s0, v35
	v_mul_f16_e32 v10, 0x34f2, v10
	v_add_f16_e32 v19, v9, v4
	v_sub_f16_e32 v4, v9, v4
	v_mov_b32_e32 v9, 0x78
	v_cmp_lt_u32_e64 s[0:1], 5, v0
	v_fma_f16 v10, v33, s3, v10
	v_add_f16_e32 v8, v28, v12
	v_cndmask_b32_e64 v9, 0, v9, s[0:1]
	v_fma_f16 v23, v33, s2, v23
	v_mul_f16_e32 v20, 0x3a79, v20
	v_add_f16_e32 v33, v11, v10
	v_mul_f16_e32 v22, 0xba79, v22
	v_sub_f16_e32 v12, v28, v12
	v_sub_f16_e32 v28, v11, v10
	v_add_u32_e32 v9, 0, v9
	v_lshlrev_b32_e32 v10, 1, v14
	v_add_f16_e32 v18, v30, v16
	v_add_f16_e32 v34, v15, v27
	v_fma_f16 v20, v25, s6, v20
	v_fma_f16 v13, v13, s6, v22
	v_sub_f16_e32 v16, v30, v16
	v_sub_f16_e32 v15, v15, v27
	v_add3_u32 v1, v9, v10, v1
	v_add_f16_e32 v26, v31, v23
	v_add_f16_e32 v36, v29, v35
	;; [unrolled: 1-line block ×4, first 2 shown]
	v_sub_f16_e32 v23, v31, v23
	v_sub_f16_e32 v27, v29, v35
	;; [unrolled: 1-line block ×4, first 2 shown]
	ds_write_b16 v1, v8
	ds_write_b16 v1, v18 offset:12
	ds_write_b16 v1, v26 offset:24
	;; [unrolled: 1-line block ×9, first 2 shown]
	s_waitcnt lgkmcnt(0)
	; wave barrier
	s_waitcnt lgkmcnt(0)
	ds_read_u16 v8, v6
	ds_read_u16 v9, v7 offset:24
	ds_read_u16 v10, v7 offset:48
	;; [unrolled: 1-line block ×9, first 2 shown]
	v_add_f16_e32 v37, v32, v24
	v_sub_f16_e32 v24, v32, v24
	s_waitcnt lgkmcnt(0)
	; wave barrier
	s_waitcnt lgkmcnt(0)
	ds_write_b16 v1, v37
	ds_write_b16 v1, v25 offset:12
	ds_write_b16 v1, v33 offset:24
	;; [unrolled: 1-line block ×9, first 2 shown]
	s_waitcnt lgkmcnt(0)
	; wave barrier
	s_waitcnt lgkmcnt(0)
	s_and_saveexec_b64 s[0:1], vcc
	s_cbranch_execz .LBB0_18
; %bb.17:
	v_mov_b32_e32 v1, v5
	v_lshlrev_b64 v[18:19], 2, v[0:1]
	v_lshl_add_u64 v[20:21], s[4:5], 0, v[18:19]
	global_load_dword v1, v[20:21], off offset:408
	global_load_dword v22, v[20:21], off offset:360
	;; [unrolled: 1-line block ×5, first 2 shown]
	v_add_u32_e32 v4, 24, v0
	s_mov_b32 s0, 0x88888889
	ds_read_u16 v20, v7 offset:216
	ds_read_u16 v21, v7 offset:192
	;; [unrolled: 1-line block ×9, first 2 shown]
	ds_read_u16 v33, v6
	v_add_u32_e32 v6, 36, v0
	v_mul_hi_u32 v4, v4, s0
	v_mul_hi_u32 v6, v6, s0
	v_lshrrev_b32_e32 v4, 5, v4
	v_lshl_add_u64 v[2:3], v[2:3], 0, v[18:19]
	v_lshrrev_b32_e32 v18, 5, v6
	v_mul_lo_u32 v4, v4, 60
	v_lshl_add_u64 v[6:7], v[4:5], 2, v[2:3]
	v_mul_lo_u32 v4, v18, 60
	v_lshl_add_u64 v[18:19], v[4:5], 2, v[2:3]
	v_or_b32_e32 v0, 48, v0
	v_mul_hi_u32 v0, v0, s0
	v_lshrrev_b32_e32 v0, 5, v0
	s_waitcnt vmcnt(4)
	v_lshrrev_b32_e32 v4, 16, v1
	v_mul_f16_e32 v34, v17, v1
	s_waitcnt vmcnt(2)
	v_lshrrev_b32_e32 v37, 16, v23
	v_lshrrev_b32_e32 v35, 16, v22
	s_waitcnt vmcnt(0)
	v_lshrrev_b32_e32 v41, 16, v25
	v_mul_f16_e32 v36, v16, v22
	v_mul_f16_e32 v38, v15, v23
	v_lshrrev_b32_e32 v39, 16, v24
	v_mul_f16_e32 v42, v13, v25
	v_mul_f16_e32 v15, v15, v37
	;; [unrolled: 1-line block ×4, first 2 shown]
	s_waitcnt lgkmcnt(9)
	v_fma_f16 v34, v20, v4, v34
	v_mul_f16_e32 v4, v17, v4
	s_waitcnt lgkmcnt(8)
	v_fma_f16 v17, v21, v35, v36
	v_mul_f16_e32 v16, v16, v35
	;; [unrolled: 3-line block ×3, first 2 shown]
	s_waitcnt lgkmcnt(4)
	v_fma_f16 v37, v29, v41, v42
	v_fma_f16 v15, v27, v23, -v15
	v_fma_f16 v13, v29, v25, -v13
	v_fma_f16 v36, v28, v39, v40
	v_fma_f16 v1, v20, v1, -v4
	v_sub_f16_e32 v4, v11, v17
	v_fma_f16 v16, v21, v22, -v16
	v_fma_f16 v14, v28, v24, -v14
	v_sub_f16_e32 v21, v8, v37
	v_sub_f16_e32 v15, v26, v15
	s_waitcnt lgkmcnt(0)
	v_sub_f16_e32 v13, v33, v13
	v_sub_f16_e32 v17, v10, v35
	;; [unrolled: 1-line block ×4, first 2 shown]
	v_fma_f16 v1, v11, 2.0, -v4
	v_sub_f16_e32 v11, v31, v16
	v_sub_f16_e32 v14, v32, v14
	v_fma_f16 v8, v8, 2.0, -v21
	v_fma_f16 v24, v26, 2.0, -v15
	v_fma_f16 v26, v33, 2.0, -v13
	v_sub_f16_e32 v34, v12, v34
	v_fma_f16 v10, v10, 2.0, -v17
	v_fma_f16 v9, v9, 2.0, -v20
	;; [unrolled: 1-line block ×4, first 2 shown]
	v_pack_b32_f16 v13, v21, v13
	v_pack_b32_f16 v14, v20, v14
	;; [unrolled: 1-line block ×5, first 2 shown]
	v_fma_f16 v12, v12, 2.0, -v34
	v_fma_f16 v16, v30, 2.0, -v22
	global_store_dword v[2:3], v13, off offset:240
	v_pack_b32_f16 v9, v9, v25
	global_store_dword v[2:3], v14, off offset:288
	v_pack_b32_f16 v10, v10, v24
	;; [unrolled: 2-line block ×3, first 2 shown]
	global_store_dword v[2:3], v8, off
	global_store_dword v[2:3], v9, off offset:48
	global_store_dword v[6:7], v10, off offset:96
	;; [unrolled: 1-line block ×4, first 2 shown]
	v_mul_lo_u32 v4, v0, 60
	v_lshl_add_u64 v[0:1], v[4:5], 2, v[2:3]
	v_pack_b32_f16 v2, v12, v16
	global_store_dword v[0:1], v2, off offset:192
	v_pack_b32_f16 v2, v34, v22
	global_store_dword v[0:1], v2, off offset:432
.LBB0_18:
	s_endpgm
	.section	.rodata,"a",@progbits
	.p2align	6, 0x0
	.amdhsa_kernel fft_rtc_back_len120_factors_6_10_2_wgs_60_tpt_12_halfLds_half_ip_CI_unitstride_sbrr_dirReg
		.amdhsa_group_segment_fixed_size 0
		.amdhsa_private_segment_fixed_size 0
		.amdhsa_kernarg_size 88
		.amdhsa_user_sgpr_count 2
		.amdhsa_user_sgpr_dispatch_ptr 0
		.amdhsa_user_sgpr_queue_ptr 0
		.amdhsa_user_sgpr_kernarg_segment_ptr 1
		.amdhsa_user_sgpr_dispatch_id 0
		.amdhsa_user_sgpr_kernarg_preload_length 0
		.amdhsa_user_sgpr_kernarg_preload_offset 0
		.amdhsa_user_sgpr_private_segment_size 0
		.amdhsa_uses_dynamic_stack 0
		.amdhsa_enable_private_segment 0
		.amdhsa_system_sgpr_workgroup_id_x 1
		.amdhsa_system_sgpr_workgroup_id_y 0
		.amdhsa_system_sgpr_workgroup_id_z 0
		.amdhsa_system_sgpr_workgroup_info 0
		.amdhsa_system_vgpr_workitem_id 0
		.amdhsa_next_free_vgpr 55
		.amdhsa_next_free_sgpr 22
		.amdhsa_accum_offset 56
		.amdhsa_reserve_vcc 1
		.amdhsa_float_round_mode_32 0
		.amdhsa_float_round_mode_16_64 0
		.amdhsa_float_denorm_mode_32 3
		.amdhsa_float_denorm_mode_16_64 3
		.amdhsa_dx10_clamp 1
		.amdhsa_ieee_mode 1
		.amdhsa_fp16_overflow 0
		.amdhsa_tg_split 0
		.amdhsa_exception_fp_ieee_invalid_op 0
		.amdhsa_exception_fp_denorm_src 0
		.amdhsa_exception_fp_ieee_div_zero 0
		.amdhsa_exception_fp_ieee_overflow 0
		.amdhsa_exception_fp_ieee_underflow 0
		.amdhsa_exception_fp_ieee_inexact 0
		.amdhsa_exception_int_div_zero 0
	.end_amdhsa_kernel
	.text
.Lfunc_end0:
	.size	fft_rtc_back_len120_factors_6_10_2_wgs_60_tpt_12_halfLds_half_ip_CI_unitstride_sbrr_dirReg, .Lfunc_end0-fft_rtc_back_len120_factors_6_10_2_wgs_60_tpt_12_halfLds_half_ip_CI_unitstride_sbrr_dirReg
                                        ; -- End function
	.section	.AMDGPU.csdata,"",@progbits
; Kernel info:
; codeLenInByte = 4776
; NumSgprs: 28
; NumVgprs: 55
; NumAgprs: 0
; TotalNumVgprs: 55
; ScratchSize: 0
; MemoryBound: 0
; FloatMode: 240
; IeeeMode: 1
; LDSByteSize: 0 bytes/workgroup (compile time only)
; SGPRBlocks: 3
; VGPRBlocks: 6
; NumSGPRsForWavesPerEU: 28
; NumVGPRsForWavesPerEU: 55
; AccumOffset: 56
; Occupancy: 8
; WaveLimiterHint : 1
; COMPUTE_PGM_RSRC2:SCRATCH_EN: 0
; COMPUTE_PGM_RSRC2:USER_SGPR: 2
; COMPUTE_PGM_RSRC2:TRAP_HANDLER: 0
; COMPUTE_PGM_RSRC2:TGID_X_EN: 1
; COMPUTE_PGM_RSRC2:TGID_Y_EN: 0
; COMPUTE_PGM_RSRC2:TGID_Z_EN: 0
; COMPUTE_PGM_RSRC2:TIDIG_COMP_CNT: 0
; COMPUTE_PGM_RSRC3_GFX90A:ACCUM_OFFSET: 13
; COMPUTE_PGM_RSRC3_GFX90A:TG_SPLIT: 0
	.text
	.p2alignl 6, 3212836864
	.fill 256, 4, 3212836864
	.type	__hip_cuid_d300b7a2887aea38,@object ; @__hip_cuid_d300b7a2887aea38
	.section	.bss,"aw",@nobits
	.globl	__hip_cuid_d300b7a2887aea38
__hip_cuid_d300b7a2887aea38:
	.byte	0                               ; 0x0
	.size	__hip_cuid_d300b7a2887aea38, 1

	.ident	"AMD clang version 19.0.0git (https://github.com/RadeonOpenCompute/llvm-project roc-6.4.0 25133 c7fe45cf4b819c5991fe208aaa96edf142730f1d)"
	.section	".note.GNU-stack","",@progbits
	.addrsig
	.addrsig_sym __hip_cuid_d300b7a2887aea38
	.amdgpu_metadata
---
amdhsa.kernels:
  - .agpr_count:     0
    .args:
      - .actual_access:  read_only
        .address_space:  global
        .offset:         0
        .size:           8
        .value_kind:     global_buffer
      - .offset:         8
        .size:           8
        .value_kind:     by_value
      - .actual_access:  read_only
        .address_space:  global
        .offset:         16
        .size:           8
        .value_kind:     global_buffer
      - .actual_access:  read_only
        .address_space:  global
        .offset:         24
        .size:           8
        .value_kind:     global_buffer
      - .offset:         32
        .size:           8
        .value_kind:     by_value
      - .actual_access:  read_only
        .address_space:  global
        .offset:         40
        .size:           8
        .value_kind:     global_buffer
      - .actual_access:  read_only
        .address_space:  global
        .offset:         48
        .size:           8
        .value_kind:     global_buffer
      - .offset:         56
        .size:           4
        .value_kind:     by_value
      - .actual_access:  read_only
        .address_space:  global
        .offset:         64
        .size:           8
        .value_kind:     global_buffer
      - .actual_access:  read_only
        .address_space:  global
        .offset:         72
        .size:           8
        .value_kind:     global_buffer
      - .address_space:  global
        .offset:         80
        .size:           8
        .value_kind:     global_buffer
    .group_segment_fixed_size: 0
    .kernarg_segment_align: 8
    .kernarg_segment_size: 88
    .language:       OpenCL C
    .language_version:
      - 2
      - 0
    .max_flat_workgroup_size: 60
    .name:           fft_rtc_back_len120_factors_6_10_2_wgs_60_tpt_12_halfLds_half_ip_CI_unitstride_sbrr_dirReg
    .private_segment_fixed_size: 0
    .sgpr_count:     28
    .sgpr_spill_count: 0
    .symbol:         fft_rtc_back_len120_factors_6_10_2_wgs_60_tpt_12_halfLds_half_ip_CI_unitstride_sbrr_dirReg.kd
    .uniform_work_group_size: 1
    .uses_dynamic_stack: false
    .vgpr_count:     55
    .vgpr_spill_count: 0
    .wavefront_size: 64
amdhsa.target:   amdgcn-amd-amdhsa--gfx950
amdhsa.version:
  - 1
  - 2
...

	.end_amdgpu_metadata
